;; amdgpu-corpus repo=ROCm/rocFFT kind=compiled arch=gfx906 opt=O3
	.text
	.amdgcn_target "amdgcn-amd-amdhsa--gfx906"
	.amdhsa_code_object_version 6
	.protected	fft_rtc_back_len64_factors_4_4_4_wgs_128_tpt_16_dp_op_CI_CI_sbrc_aligned ; -- Begin function fft_rtc_back_len64_factors_4_4_4_wgs_128_tpt_16_dp_op_CI_CI_sbrc_aligned
	.globl	fft_rtc_back_len64_factors_4_4_4_wgs_128_tpt_16_dp_op_CI_CI_sbrc_aligned
	.p2align	8
	.type	fft_rtc_back_len64_factors_4_4_4_wgs_128_tpt_16_dp_op_CI_CI_sbrc_aligned,@function
fft_rtc_back_len64_factors_4_4_4_wgs_128_tpt_16_dp_op_CI_CI_sbrc_aligned: ; @fft_rtc_back_len64_factors_4_4_4_wgs_128_tpt_16_dp_op_CI_CI_sbrc_aligned
; %bb.0:
	s_load_dwordx8 s[8:15], s[4:5], 0x0
	s_mov_b32 s34, 0
	s_mov_b32 s30, 3
	s_mov_b64 s[36:37], 2
	s_waitcnt lgkmcnt(0)
	s_load_dword s0, s[12:13], 0x8
	s_load_dwordx4 s[20:23], s[4:5], 0x58
	s_load_dwordx2 s[28:29], s[4:5], 0x20
	s_load_dwordx4 s[24:27], s[14:15], 0x0
	s_mov_b32 s5, s34
	s_waitcnt lgkmcnt(0)
	s_add_i32 s0, s0, -1
	s_lshr_b32 s0, s0, 3
	s_add_i32 s33, s0, 1
	v_cvt_f32_u32_e32 v1, s33
	s_sub_i32 s2, 0, s33
	s_load_dwordx4 s[16:19], s[28:29], 0x0
	v_cmp_gt_u64_e64 s[0:1], s[10:11], 2
	v_rcp_iflag_f32_e32 v1, v1
	v_mul_f32_e32 v1, 0x4f7ffffe, v1
	v_cvt_u32_f32_e32 v1, v1
	v_readfirstlane_b32 s3, v1
	s_mul_i32 s2, s2, s3
	s_mul_hi_u32 s2, s3, s2
	s_add_i32 s3, s3, s2
	s_mul_hi_u32 s2, s6, s3
	s_mul_i32 s3, s2, s33
	s_sub_i32 s3, s6, s3
	s_add_i32 s4, s2, 1
	s_sub_i32 s7, s3, s33
	s_cmp_ge_u32 s3, s33
	s_cselect_b32 s2, s4, s2
	s_cselect_b32 s3, s7, s3
	s_add_i32 s4, s2, 1
	s_cmp_ge_u32 s3, s33
	s_cselect_b32 s7, s4, s2
	s_mul_i32 s2, s7, s33
	s_sub_i32 s2, s6, s2
	s_lshl_b32 s2, s2, 3
	s_waitcnt lgkmcnt(0)
	s_mul_i32 s3, s17, s2
	s_mul_hi_u32 s19, s16, s2
	s_mul_i32 s4, s2, s26
	s_mul_i32 s2, s16, s2
	s_add_i32 s3, s19, s3
	s_and_b64 vcc, exec, s[0:1]
	s_cbranch_vccz .LBB0_9
; %bb.1:
	v_mov_b32_e32 v1, s10
	v_mov_b32_e32 v2, s11
.LBB0_2:                                ; =>This Inner Loop Header: Depth=1
	s_lshl_b64 s[36:37], s[36:37], 3
	s_add_u32 s0, s12, s36
	s_addc_u32 s1, s13, s37
	s_load_dwordx2 s[38:39], s[0:1], 0x0
	s_waitcnt lgkmcnt(0)
	s_mov_b32 s35, s39
	s_cmp_lg_u64 s[34:35], 0
	s_cbranch_scc0 .LBB0_7
; %bb.3:                                ;   in Loop: Header=BB0_2 Depth=1
	v_cvt_f32_u32_e32 v3, s38
	v_cvt_f32_u32_e32 v4, s39
	s_sub_u32 s0, 0, s38
	s_subb_u32 s1, 0, s39
	v_mac_f32_e32 v3, 0x4f800000, v4
	v_rcp_f32_e32 v3, v3
	v_mul_f32_e32 v3, 0x5f7ffffc, v3
	v_mul_f32_e32 v4, 0x2f800000, v3
	v_trunc_f32_e32 v4, v4
	v_mac_f32_e32 v3, 0xcf800000, v4
	v_cvt_u32_f32_e32 v4, v4
	v_cvt_u32_f32_e32 v3, v3
	v_readfirstlane_b32 s19, v4
	v_readfirstlane_b32 s27, v3
	s_mul_i32 s31, s0, s19
	s_mul_hi_u32 s40, s0, s27
	s_mul_i32 s35, s1, s27
	s_add_i32 s31, s40, s31
	s_mul_i32 s41, s0, s27
	s_add_i32 s31, s31, s35
	s_mul_hi_u32 s35, s27, s31
	s_mul_i32 s40, s27, s31
	s_mul_hi_u32 s27, s27, s41
	s_add_u32 s27, s27, s40
	s_addc_u32 s35, 0, s35
	s_mul_hi_u32 s42, s19, s41
	s_mul_i32 s41, s19, s41
	s_add_u32 s27, s27, s41
	s_mul_hi_u32 s40, s19, s31
	s_addc_u32 s27, s35, s42
	s_addc_u32 s35, s40, 0
	s_mul_i32 s31, s19, s31
	s_add_u32 s27, s27, s31
	s_addc_u32 s31, 0, s35
	v_add_co_u32_e32 v3, vcc, s27, v3
	s_cmp_lg_u64 vcc, 0
	s_addc_u32 s19, s19, s31
	v_readfirstlane_b32 s31, v3
	s_mul_i32 s27, s0, s19
	s_mul_hi_u32 s35, s0, s31
	s_add_i32 s27, s35, s27
	s_mul_i32 s1, s1, s31
	s_add_i32 s27, s27, s1
	s_mul_i32 s0, s0, s31
	s_mul_hi_u32 s35, s19, s0
	s_mul_i32 s40, s19, s0
	s_mul_i32 s42, s31, s27
	s_mul_hi_u32 s0, s31, s0
	s_mul_hi_u32 s41, s31, s27
	s_add_u32 s0, s0, s42
	s_addc_u32 s31, 0, s41
	s_add_u32 s0, s0, s40
	s_mul_hi_u32 s1, s19, s27
	s_addc_u32 s0, s31, s35
	s_addc_u32 s1, s1, 0
	s_mul_i32 s27, s19, s27
	s_add_u32 s0, s0, s27
	s_addc_u32 s1, 0, s1
	v_add_co_u32_e32 v3, vcc, s0, v3
	s_cmp_lg_u64 vcc, 0
	s_addc_u32 s0, s19, s1
	v_readfirstlane_b32 s19, v3
	s_mul_hi_u32 s1, s7, s0
	s_mul_i32 s0, s7, s0
	s_mul_hi_u32 s19, s7, s19
	s_add_u32 s0, s19, s0
	s_addc_u32 s19, 0, s1
	s_mul_i32 s0, s39, s19
	s_mul_hi_u32 s1, s38, s19
	s_add_i32 s27, s1, s0
	s_mul_i32 s1, s38, s19
	v_mov_b32_e32 v3, s1
	s_sub_i32 s0, 0, s27
	v_sub_co_u32_e32 v3, vcc, s7, v3
	s_cmp_lg_u64 vcc, 0
	s_subb_u32 s31, s0, s39
	v_subrev_co_u32_e64 v4, s[0:1], s38, v3
	s_cmp_lg_u64 s[0:1], 0
	s_subb_u32 s0, s31, 0
	s_cmp_ge_u32 s0, s39
	v_readfirstlane_b32 s31, v4
	s_cselect_b32 s1, -1, 0
	s_cmp_ge_u32 s31, s38
	s_cselect_b32 s31, -1, 0
	s_cmp_eq_u32 s0, s39
	s_cselect_b32 s0, s31, s1
	s_add_u32 s1, s19, 1
	s_addc_u32 s31, 0, 0
	s_add_u32 s35, s19, 2
	s_addc_u32 s40, 0, 0
	s_cmp_lg_u32 s0, 0
	s_cselect_b32 s0, s35, s1
	s_cselect_b32 s1, s40, s31
	s_cmp_lg_u64 vcc, 0
	s_subb_u32 s27, 0, s27
	s_cmp_ge_u32 s27, s39
	v_readfirstlane_b32 s35, v3
	s_cselect_b32 s31, -1, 0
	s_cmp_ge_u32 s35, s38
	s_cselect_b32 s35, -1, 0
	s_cmp_eq_u32 s27, s39
	s_cselect_b32 s27, s35, s31
	s_cmp_lg_u32 s27, 0
	s_cselect_b32 s1, s1, 0
	s_cselect_b32 s0, s0, s19
	s_cbranch_execnz .LBB0_5
.LBB0_4:                                ;   in Loop: Header=BB0_2 Depth=1
	v_cvt_f32_u32_e32 v3, s38
	s_sub_i32 s0, 0, s38
	v_rcp_iflag_f32_e32 v3, v3
	v_mul_f32_e32 v3, 0x4f7ffffe, v3
	v_cvt_u32_f32_e32 v3, v3
	v_readfirstlane_b32 s1, v3
	s_mul_i32 s0, s0, s1
	s_mul_hi_u32 s0, s1, s0
	s_add_i32 s1, s1, s0
	s_mul_hi_u32 s0, s7, s1
	s_mul_i32 s19, s0, s38
	s_sub_i32 s19, s7, s19
	s_add_i32 s1, s0, 1
	s_sub_i32 s27, s19, s38
	s_cmp_ge_u32 s19, s38
	s_cselect_b32 s0, s1, s0
	s_cselect_b32 s19, s27, s19
	s_add_i32 s1, s0, 1
	s_cmp_ge_u32 s19, s38
	s_cselect_b32 s0, s1, s0
	s_mov_b32 s1, s34
.LBB0_5:                                ;   in Loop: Header=BB0_2 Depth=1
	s_mul_i32 s19, s0, s39
	s_mul_hi_u32 s27, s0, s38
	s_add_i32 s19, s27, s19
	s_mul_i32 s1, s1, s38
	s_add_i32 s19, s19, s1
	s_mul_i32 s1, s0, s38
	s_sub_u32 s1, s7, s1
	s_subb_u32 s7, 0, s19
	s_add_u32 s40, s14, s36
	s_addc_u32 s41, s15, s37
	s_load_dwordx2 s[40:41], s[40:41], 0x0
	s_mov_b32 s31, s34
	v_cmp_ge_u64_e32 vcc, s[30:31], v[1:2]
	s_mul_i32 s33, s33, s38
	s_waitcnt lgkmcnt(0)
	s_mul_i32 s19, s40, s7
	s_mul_hi_u32 s27, s40, s1
	s_add_i32 s19, s27, s19
	s_mul_i32 s27, s41, s1
	s_add_i32 s19, s19, s27
	s_mul_i32 s27, s40, s1
	s_add_u32 s4, s27, s4
	s_addc_u32 s5, s19, s5
	s_add_u32 s36, s28, s36
	s_addc_u32 s37, s29, s37
	s_load_dwordx2 s[36:37], s[36:37], 0x0
	s_waitcnt lgkmcnt(0)
	s_mul_i32 s7, s36, s7
	s_mul_hi_u32 s19, s36, s1
	s_add_i32 s7, s19, s7
	s_mul_i32 s19, s37, s1
	s_add_i32 s7, s7, s19
	s_mul_i32 s1, s36, s1
	s_add_u32 s2, s1, s2
	s_addc_u32 s3, s7, s3
	s_mov_b64 s[36:37], s[30:31]
	s_add_i32 s30, s30, 1
	s_cbranch_vccnz .LBB0_8
; %bb.6:                                ;   in Loop: Header=BB0_2 Depth=1
	s_mov_b32 s7, s0
	s_branch .LBB0_2
.LBB0_7:                                ;   in Loop: Header=BB0_2 Depth=1
                                        ; implicit-def: $sgpr0_sgpr1
	s_branch .LBB0_4
.LBB0_8:
	v_cvt_f32_u32_e32 v1, s33
	s_sub_i32 s0, 0, s33
	v_rcp_iflag_f32_e32 v1, v1
	v_mul_f32_e32 v1, 0x4f7ffffe, v1
	v_cvt_u32_f32_e32 v1, v1
	v_readfirstlane_b32 s1, v1
	s_mul_i32 s0, s0, s1
	s_mul_hi_u32 s0, s1, s0
	s_add_i32 s1, s1, s0
	s_mul_hi_u32 s0, s6, s1
	s_mul_i32 s1, s0, s33
	s_sub_i32 s1, s6, s1
	s_add_i32 s7, s0, 1
	s_sub_i32 s6, s1, s33
	s_cmp_ge_u32 s1, s33
	s_cselect_b32 s0, s7, s0
	s_cselect_b32 s1, s6, s1
	s_add_i32 s6, s0, 1
	s_cmp_ge_u32 s1, s33
	s_cselect_b32 s7, s6, s0
.LBB0_9:
	s_lshl_b64 s[0:1], s[10:11], 3
	s_add_u32 s10, s14, s0
	s_addc_u32 s11, s15, s1
	s_load_dwordx2 s[10:11], s[10:11], 0x0
	v_and_b32_e32 v19, 63, v0
	v_mad_u64_u32 v[3:4], s[12:13], s24, v19, 0
	v_lshrrev_b32_e32 v20, 6, v0
	s_waitcnt lgkmcnt(0)
	s_mul_i32 s6, s11, s7
	s_mul_hi_u32 s11, s10, s7
	s_add_i32 s11, s11, s6
	s_add_u32 s0, s28, s0
	s_addc_u32 s1, s29, s1
	s_load_dwordx2 s[0:1], s[0:1], 0x0
	v_mov_b32_e32 v1, v4
	v_mad_u64_u32 v[1:2], s[12:13], s25, v19, v[1:2]
	s_mul_i32 s10, s10, s7
	s_waitcnt lgkmcnt(0)
	s_mul_i32 s1, s1, s7
	s_mul_hi_u32 s6, s0, s7
	s_add_i32 s1, s6, s1
	s_lshl_b64 s[10:11], s[10:11], 4
	s_add_u32 s6, s20, s10
	v_mov_b32_e32 v4, v1
	v_mul_lo_u32 v1, v20, s26
	s_addc_u32 s10, s21, s11
	s_lshl_b64 s[4:5], s[4:5], 4
	s_add_u32 s4, s6, s4
	v_lshlrev_b64 v[3:4], 4, v[3:4]
	s_addc_u32 s5, s10, s5
	v_mov_b32_e32 v2, 0
	v_mov_b32_e32 v5, s5
	v_add_co_u32_e32 v15, vcc, s4, v3
	v_addc_co_u32_e32 v16, vcc, v5, v4, vcc
	v_lshlrev_b64 v[3:4], 4, v[1:2]
	s_lshl_b32 s4, s26, 1
	v_add_co_u32_e32 v3, vcc, v15, v3
	v_addc_co_u32_e32 v4, vcc, v16, v4, vcc
	global_load_dwordx4 v[3:6], v[3:4], off
	v_add_u32_e32 v1, s4, v1
	v_lshlrev_b64 v[7:8], 4, v[1:2]
	v_add_u32_e32 v1, s4, v1
	v_lshlrev_b64 v[9:10], 4, v[1:2]
	v_add_co_u32_e32 v7, vcc, v15, v7
	v_add_u32_e32 v1, s4, v1
	v_addc_co_u32_e32 v8, vcc, v16, v8, vcc
	v_lshlrev_b64 v[11:12], 4, v[1:2]
	v_add_co_u32_e32 v13, vcc, v15, v9
	v_addc_co_u32_e32 v14, vcc, v16, v10, vcc
	global_load_dwordx4 v[7:10], v[7:8], off
	v_add_co_u32_e32 v15, vcc, v15, v11
	v_lshl_add_u32 v17, v0, 4, 0
	v_addc_co_u32_e32 v16, vcc, v16, v12, vcc
	global_load_dwordx4 v[11:14], v[13:14], off
	v_and_b32_e32 v1, 15, v0
	v_lshlrev_b32_e32 v21, 4, v1
	v_and_b32_e32 v28, 3, v0
	s_mul_i32 s0, s0, s7
	s_lshl_b64 s[0:1], s[0:1], 4
	s_waitcnt vmcnt(2)
	ds_write_b128 v17, v[3:6]
	global_load_dwordx4 v[15:18], v[15:16], off
	v_lshlrev_b32_e32 v3, 6, v0
	v_lshlrev_b32_e32 v4, 4, v19
	v_and_b32_e32 v19, 0x1c00, v3
	v_lshl_or_b32 v4, v20, 10, v4
	v_add3_u32 v3, 0, v21, v19
	v_add_u32_e32 v4, 0, v4
	v_add_u32_e32 v26, 0, v19
	v_add_u32_e32 v27, v26, v21
	v_mad_u32_u24 v24, v1, 48, v3
	v_mul_u32_u24_e32 v1, 3, v1
	v_lshlrev_b32_e32 v1, 4, v1
	s_waitcnt vmcnt(2)
	ds_write_b128 v4, v[7:10] offset:2048
	s_waitcnt vmcnt(1)
	ds_write_b128 v4, v[11:14] offset:4096
	;; [unrolled: 2-line block ×3, first 2 shown]
	s_waitcnt lgkmcnt(0)
	s_barrier
	ds_read_b128 v[4:7], v3 offset:256
	ds_read_b128 v[8:11], v3 offset:768
	;; [unrolled: 1-line block ×3, first 2 shown]
	s_waitcnt lgkmcnt(1)
	v_add_f64 v[16:17], v[4:5], -v[8:9]
	v_add_f64 v[18:19], v[6:7], -v[10:11]
	ds_read_b128 v[8:11], v27
	s_waitcnt lgkmcnt(0)
	s_barrier
	v_add_f64 v[12:13], v[8:9], -v[12:13]
	v_add_f64 v[14:15], v[10:11], -v[14:15]
	v_fma_f64 v[20:21], v[4:5], 2.0, -v[16:17]
	v_fma_f64 v[22:23], v[6:7], 2.0, -v[18:19]
	v_add_f64 v[4:5], v[12:13], v[18:19]
	v_add_f64 v[6:7], v[14:15], -v[16:17]
	v_fma_f64 v[16:17], v[8:9], 2.0, -v[12:13]
	v_fma_f64 v[18:19], v[10:11], 2.0, -v[14:15]
	;; [unrolled: 1-line block ×4, first 2 shown]
	ds_write_b128 v24, v[4:7] offset:48
	v_add_f64 v[4:5], v[16:17], -v[20:21]
	v_add_f64 v[6:7], v[18:19], -v[22:23]
	ds_write_b128 v24, v[8:11] offset:16
	v_mul_u32_u24_e32 v8, 3, v28
	v_fma_f64 v[12:13], v[16:17], 2.0, -v[4:5]
	v_fma_f64 v[14:15], v[18:19], 2.0, -v[6:7]
	v_lshlrev_b32_e32 v20, 4, v8
	ds_write_b128 v24, v[4:7] offset:32
	ds_write_b128 v24, v[12:15]
	s_waitcnt lgkmcnt(0)
	s_barrier
	global_load_dwordx4 v[4:7], v20, s[8:9]
	ds_read_b128 v[8:11], v3 offset:256
	s_waitcnt vmcnt(0) lgkmcnt(0)
	v_mul_f64 v[12:13], v[10:11], v[6:7]
	v_mul_f64 v[6:7], v[8:9], v[6:7]
	v_fma_f64 v[12:13], v[8:9], v[4:5], v[12:13]
	v_fma_f64 v[14:15], v[10:11], v[4:5], -v[6:7]
	global_load_dwordx4 v[4:7], v20, s[8:9] offset:16
	ds_read_b128 v[8:11], v3 offset:512
	s_waitcnt vmcnt(0) lgkmcnt(0)
	v_mul_f64 v[16:17], v[10:11], v[6:7]
	v_mul_f64 v[6:7], v[8:9], v[6:7]
	v_fma_f64 v[16:17], v[8:9], v[4:5], v[16:17]
	v_fma_f64 v[18:19], v[10:11], v[4:5], -v[6:7]
	global_load_dwordx4 v[4:7], v20, s[8:9] offset:32
	ds_read_b128 v[8:11], v3 offset:768
	s_waitcnt vmcnt(0) lgkmcnt(0)
	v_mul_f64 v[20:21], v[10:11], v[6:7]
	v_mul_f64 v[6:7], v[8:9], v[6:7]
	v_fma_f64 v[20:21], v[8:9], v[4:5], v[20:21]
	v_fma_f64 v[8:9], v[10:11], v[4:5], -v[6:7]
	ds_read_b128 v[4:7], v27
	s_waitcnt lgkmcnt(0)
	s_barrier
	v_add_f64 v[10:11], v[4:5], -v[16:17]
	v_add_f64 v[16:17], v[6:7], -v[18:19]
	v_add_f64 v[24:25], v[14:15], -v[8:9]
	v_add_f64 v[20:21], v[12:13], -v[20:21]
	v_fma_f64 v[18:19], v[4:5], 2.0, -v[10:11]
	v_fma_f64 v[22:23], v[6:7], 2.0, -v[16:17]
	v_add_f64 v[4:5], v[10:11], v[24:25]
	v_add_f64 v[6:7], v[16:17], -v[20:21]
	v_fma_f64 v[8:9], v[10:11], 2.0, -v[4:5]
	v_fma_f64 v[10:11], v[16:17], 2.0, -v[6:7]
	v_lshlrev_b32_e32 v16, 2, v0
	v_and_or_b32 v16, v16, 48, v28
	v_lshl_add_u32 v16, v16, 4, v26
	ds_write_b128 v16, v[4:7] offset:192
	v_fma_f64 v[4:5], v[12:13], 2.0, -v[20:21]
	v_fma_f64 v[6:7], v[14:15], 2.0, -v[24:25]
	v_add_f64 v[4:5], v[18:19], -v[4:5]
	v_add_f64 v[6:7], v[22:23], -v[6:7]
	v_fma_f64 v[12:13], v[18:19], 2.0, -v[4:5]
	v_fma_f64 v[14:15], v[22:23], 2.0, -v[6:7]
	ds_write_b128 v16, v[8:11] offset:64
	ds_write_b128 v16, v[4:7] offset:128
	ds_write_b128 v16, v[12:15]
	s_waitcnt lgkmcnt(0)
	s_barrier
	global_load_dwordx4 v[4:7], v1, s[8:9] offset:192
	ds_read_b128 v[8:11], v3 offset:256
	s_waitcnt vmcnt(0) lgkmcnt(0)
	v_mul_f64 v[12:13], v[10:11], v[6:7]
	v_mul_f64 v[6:7], v[8:9], v[6:7]
	v_fma_f64 v[12:13], v[8:9], v[4:5], v[12:13]
	v_fma_f64 v[14:15], v[10:11], v[4:5], -v[6:7]
	global_load_dwordx4 v[4:7], v1, s[8:9] offset:208
	ds_read_b128 v[8:11], v3 offset:512
	s_waitcnt vmcnt(0) lgkmcnt(0)
	v_mul_f64 v[16:17], v[10:11], v[6:7]
	v_mul_f64 v[6:7], v[8:9], v[6:7]
	v_fma_f64 v[16:17], v[8:9], v[4:5], v[16:17]
	v_fma_f64 v[18:19], v[10:11], v[4:5], -v[6:7]
	;; [unrolled: 7-line block ×3, first 2 shown]
	ds_read_b128 v[4:7], v27
	s_waitcnt lgkmcnt(0)
	s_barrier
	v_add_f64 v[10:11], v[4:5], -v[16:17]
	v_add_f64 v[16:17], v[6:7], -v[18:19]
	;; [unrolled: 1-line block ×4, first 2 shown]
	v_fma_f64 v[18:19], v[4:5], 2.0, -v[10:11]
	v_fma_f64 v[22:23], v[6:7], 2.0, -v[16:17]
	v_add_f64 v[4:5], v[10:11], v[24:25]
	v_add_f64 v[6:7], v[16:17], -v[20:21]
	v_fma_f64 v[8:9], v[10:11], 2.0, -v[4:5]
	v_fma_f64 v[10:11], v[16:17], 2.0, -v[6:7]
	v_and_b32_e32 v16, 7, v0
	ds_write_b128 v3, v[4:7] offset:768
	v_mad_u64_u32 v[4:5], s[4:5], s16, v16, 0
	v_lshrrev_b32_e32 v0, 3, v0
	v_mov_b32_e32 v1, v5
	v_mad_u64_u32 v[5:6], s[4:5], s17, v16, v[1:2]
	v_fma_f64 v[6:7], v[12:13], 2.0, -v[20:21]
	v_lshlrev_b32_e32 v1, 10, v16
	v_lshlrev_b32_e32 v12, 4, v0
	v_add3_u32 v20, 0, v1, v12
	v_fma_f64 v[12:13], v[14:15], 2.0, -v[24:25]
	s_add_u32 s4, s22, s0
	s_addc_u32 s5, s23, s1
	s_lshl_b64 s[0:1], s[2:3], 4
	v_lshlrev_b64 v[4:5], 4, v[4:5]
	s_add_u32 s0, s4, s0
	s_addc_u32 s1, s5, s1
	v_add_co_u32_e32 v21, vcc, s0, v4
	v_mul_lo_u32 v1, v0, s18
	v_mov_b32_e32 v0, s1
	v_addc_co_u32_e32 v24, vcc, v0, v5, vcc
	v_add_f64 v[4:5], v[18:19], -v[6:7]
	v_add_f64 v[6:7], v[22:23], -v[12:13]
	ds_write_b128 v3, v[8:11] offset:256
	s_lshl_b32 s0, s18, 4
	v_lshlrev_b64 v[12:13], 4, v[1:2]
	v_add_u32_e32 v1, s0, v1
	v_lshlrev_b64 v[14:15], 4, v[1:2]
	v_add_u32_e32 v1, s0, v1
	v_fma_f64 v[8:9], v[18:19], 2.0, -v[4:5]
	v_fma_f64 v[10:11], v[22:23], 2.0, -v[6:7]
	v_lshlrev_b64 v[16:17], 4, v[1:2]
	v_add_u32_e32 v1, s0, v1
	v_lshlrev_b64 v[18:19], 4, v[1:2]
	ds_write_b128 v3, v[4:7] offset:512
	v_add_co_u32_e32 v12, vcc, v21, v12
	v_addc_co_u32_e32 v13, vcc, v24, v13, vcc
	ds_write_b128 v3, v[8:11]
	s_waitcnt lgkmcnt(0)
	s_barrier
	ds_read_b128 v[0:3], v20
	ds_read_b128 v[4:7], v20 offset:256
	v_add_co_u32_e32 v14, vcc, v21, v14
	v_addc_co_u32_e32 v15, vcc, v24, v15, vcc
	s_waitcnt lgkmcnt(1)
	global_store_dwordx4 v[12:13], v[0:3], off
	ds_read_b128 v[0:3], v20 offset:512
	ds_read_b128 v[8:11], v20 offset:768
	v_add_co_u32_e32 v16, vcc, v21, v16
	v_addc_co_u32_e32 v17, vcc, v24, v17, vcc
	v_add_co_u32_e32 v18, vcc, v21, v18
	v_addc_co_u32_e32 v19, vcc, v24, v19, vcc
	s_waitcnt lgkmcnt(2)
	global_store_dwordx4 v[14:15], v[4:7], off
	s_waitcnt lgkmcnt(1)
	global_store_dwordx4 v[16:17], v[0:3], off
	;; [unrolled: 2-line block ×3, first 2 shown]
	s_endpgm
	.section	.rodata,"a",@progbits
	.p2align	6, 0x0
	.amdhsa_kernel fft_rtc_back_len64_factors_4_4_4_wgs_128_tpt_16_dp_op_CI_CI_sbrc_aligned
		.amdhsa_group_segment_fixed_size 0
		.amdhsa_private_segment_fixed_size 0
		.amdhsa_kernarg_size 104
		.amdhsa_user_sgpr_count 6
		.amdhsa_user_sgpr_private_segment_buffer 1
		.amdhsa_user_sgpr_dispatch_ptr 0
		.amdhsa_user_sgpr_queue_ptr 0
		.amdhsa_user_sgpr_kernarg_segment_ptr 1
		.amdhsa_user_sgpr_dispatch_id 0
		.amdhsa_user_sgpr_flat_scratch_init 0
		.amdhsa_user_sgpr_private_segment_size 0
		.amdhsa_uses_dynamic_stack 0
		.amdhsa_system_sgpr_private_segment_wavefront_offset 0
		.amdhsa_system_sgpr_workgroup_id_x 1
		.amdhsa_system_sgpr_workgroup_id_y 0
		.amdhsa_system_sgpr_workgroup_id_z 0
		.amdhsa_system_sgpr_workgroup_info 0
		.amdhsa_system_vgpr_workitem_id 0
		.amdhsa_next_free_vgpr 29
		.amdhsa_next_free_sgpr 43
		.amdhsa_reserve_vcc 1
		.amdhsa_reserve_flat_scratch 0
		.amdhsa_float_round_mode_32 0
		.amdhsa_float_round_mode_16_64 0
		.amdhsa_float_denorm_mode_32 3
		.amdhsa_float_denorm_mode_16_64 3
		.amdhsa_dx10_clamp 1
		.amdhsa_ieee_mode 1
		.amdhsa_fp16_overflow 0
		.amdhsa_exception_fp_ieee_invalid_op 0
		.amdhsa_exception_fp_denorm_src 0
		.amdhsa_exception_fp_ieee_div_zero 0
		.amdhsa_exception_fp_ieee_overflow 0
		.amdhsa_exception_fp_ieee_underflow 0
		.amdhsa_exception_fp_ieee_inexact 0
		.amdhsa_exception_int_div_zero 0
	.end_amdhsa_kernel
	.text
.Lfunc_end0:
	.size	fft_rtc_back_len64_factors_4_4_4_wgs_128_tpt_16_dp_op_CI_CI_sbrc_aligned, .Lfunc_end0-fft_rtc_back_len64_factors_4_4_4_wgs_128_tpt_16_dp_op_CI_CI_sbrc_aligned
                                        ; -- End function
	.section	.AMDGPU.csdata,"",@progbits
; Kernel info:
; codeLenInByte = 2644
; NumSgprs: 47
; NumVgprs: 29
; ScratchSize: 0
; MemoryBound: 0
; FloatMode: 240
; IeeeMode: 1
; LDSByteSize: 0 bytes/workgroup (compile time only)
; SGPRBlocks: 5
; VGPRBlocks: 7
; NumSGPRsForWavesPerEU: 47
; NumVGPRsForWavesPerEU: 29
; Occupancy: 8
; WaveLimiterHint : 1
; COMPUTE_PGM_RSRC2:SCRATCH_EN: 0
; COMPUTE_PGM_RSRC2:USER_SGPR: 6
; COMPUTE_PGM_RSRC2:TRAP_HANDLER: 0
; COMPUTE_PGM_RSRC2:TGID_X_EN: 1
; COMPUTE_PGM_RSRC2:TGID_Y_EN: 0
; COMPUTE_PGM_RSRC2:TGID_Z_EN: 0
; COMPUTE_PGM_RSRC2:TIDIG_COMP_CNT: 0
	.type	__hip_cuid_a410e03afae62351,@object ; @__hip_cuid_a410e03afae62351
	.section	.bss,"aw",@nobits
	.globl	__hip_cuid_a410e03afae62351
__hip_cuid_a410e03afae62351:
	.byte	0                               ; 0x0
	.size	__hip_cuid_a410e03afae62351, 1

	.ident	"AMD clang version 19.0.0git (https://github.com/RadeonOpenCompute/llvm-project roc-6.4.0 25133 c7fe45cf4b819c5991fe208aaa96edf142730f1d)"
	.section	".note.GNU-stack","",@progbits
	.addrsig
	.addrsig_sym __hip_cuid_a410e03afae62351
	.amdgpu_metadata
---
amdhsa.kernels:
  - .args:
      - .actual_access:  read_only
        .address_space:  global
        .offset:         0
        .size:           8
        .value_kind:     global_buffer
      - .offset:         8
        .size:           8
        .value_kind:     by_value
      - .actual_access:  read_only
        .address_space:  global
        .offset:         16
        .size:           8
        .value_kind:     global_buffer
      - .actual_access:  read_only
        .address_space:  global
        .offset:         24
        .size:           8
        .value_kind:     global_buffer
      - .actual_access:  read_only
        .address_space:  global
        .offset:         32
        .size:           8
        .value_kind:     global_buffer
      - .offset:         40
        .size:           8
        .value_kind:     by_value
      - .actual_access:  read_only
        .address_space:  global
        .offset:         48
        .size:           8
        .value_kind:     global_buffer
      - .actual_access:  read_only
        .address_space:  global
        .offset:         56
        .size:           8
        .value_kind:     global_buffer
      - .offset:         64
        .size:           4
        .value_kind:     by_value
      - .actual_access:  read_only
        .address_space:  global
        .offset:         72
        .size:           8
        .value_kind:     global_buffer
      - .actual_access:  read_only
        .address_space:  global
        .offset:         80
        .size:           8
        .value_kind:     global_buffer
      - .actual_access:  read_only
        .address_space:  global
        .offset:         88
        .size:           8
        .value_kind:     global_buffer
      - .actual_access:  write_only
        .address_space:  global
        .offset:         96
        .size:           8
        .value_kind:     global_buffer
    .group_segment_fixed_size: 0
    .kernarg_segment_align: 8
    .kernarg_segment_size: 104
    .language:       OpenCL C
    .language_version:
      - 2
      - 0
    .max_flat_workgroup_size: 128
    .name:           fft_rtc_back_len64_factors_4_4_4_wgs_128_tpt_16_dp_op_CI_CI_sbrc_aligned
    .private_segment_fixed_size: 0
    .sgpr_count:     47
    .sgpr_spill_count: 0
    .symbol:         fft_rtc_back_len64_factors_4_4_4_wgs_128_tpt_16_dp_op_CI_CI_sbrc_aligned.kd
    .uniform_work_group_size: 1
    .uses_dynamic_stack: false
    .vgpr_count:     29
    .vgpr_spill_count: 0
    .wavefront_size: 64
amdhsa.target:   amdgcn-amd-amdhsa--gfx906
amdhsa.version:
  - 1
  - 2
...

	.end_amdgpu_metadata
